;; amdgpu-corpus repo=ROCm/rocFFT kind=compiled arch=gfx1030 opt=O3
	.text
	.amdgcn_target "amdgcn-amd-amdhsa--gfx1030"
	.amdhsa_code_object_version 6
	.protected	bluestein_single_back_len300_dim1_sp_op_CI_CI ; -- Begin function bluestein_single_back_len300_dim1_sp_op_CI_CI
	.globl	bluestein_single_back_len300_dim1_sp_op_CI_CI
	.p2align	8
	.type	bluestein_single_back_len300_dim1_sp_op_CI_CI,@function
bluestein_single_back_len300_dim1_sp_op_CI_CI: ; @bluestein_single_back_len300_dim1_sp_op_CI_CI
; %bb.0:
	s_load_dwordx4 s[12:15], s[4:5], 0x28
	v_mul_u32_u24_e32 v1, 0x889, v0
	v_mov_b32_e32 v53, 0
	s_mov_b32 s0, exec_lo
	v_lshrrev_b32_e32 v1, 16, v1
	v_lshl_add_u32 v52, s6, 1, v1
	s_waitcnt lgkmcnt(0)
	v_cmpx_gt_u64_e64 s[12:13], v[52:53]
	s_cbranch_execz .LBB0_10
; %bb.1:
	s_clause 0x1
	s_load_dwordx4 s[8:11], s[4:5], 0x18
	s_load_dwordx4 s[0:3], s[4:5], 0x0
	v_mul_lo_u16 v2, v1, 30
	s_load_dwordx2 s[4:5], s[4:5], 0x38
	v_sub_nc_u16 v16, v0, v2
	v_and_b32_e32 v81, 0xffff, v16
	v_and_b32_e32 v23, 0xff, v16
	s_waitcnt lgkmcnt(0)
	s_load_dwordx4 s[16:19], s[8:9], 0x0
	s_waitcnt lgkmcnt(0)
	v_mad_u64_u32 v[2:3], null, s18, v52, 0
	v_mad_u64_u32 v[4:5], null, s16, v81, 0
	s_mul_hi_u32 s7, s16, 0xf0
	s_mul_i32 s8, s16, 0xf0
	v_mov_b32_e32 v0, v3
	v_mov_b32_e32 v3, v5
	v_mad_u64_u32 v[5:6], null, s19, v52, v[0:1]
	v_mad_u64_u32 v[6:7], null, s17, v81, v[3:4]
	v_lshlrev_b32_e32 v0, 3, v81
	s_clause 0x3
	global_load_dwordx2 v[65:66], v0, s[0:1]
	global_load_dwordx2 v[67:68], v0, s[0:1] offset:240
	global_load_dwordx2 v[53:54], v0, s[0:1] offset:480
	;; [unrolled: 1-line block ×3, first 2 shown]
	v_mov_b32_e32 v3, v5
	v_mov_b32_e32 v5, v6
	v_add_co_u32 v84, s6, s0, v0
	v_add_co_ci_u32_e64 v83, null, s1, 0, s6
	v_lshlrev_b64 v[2:3], 3, v[2:3]
	v_lshlrev_b64 v[4:5], 3, v[4:5]
	s_mul_i32 s6, s17, 0xf0
	s_clause 0x3
	global_load_dwordx2 v[57:58], v0, s[0:1] offset:960
	global_load_dwordx2 v[61:62], v0, s[0:1] offset:1200
	;; [unrolled: 1-line block ×4, first 2 shown]
	s_add_i32 s7, s7, s6
	v_and_b32_e32 v1, 1, v1
	v_add_co_u32 v2, vcc_lo, s14, v2
	v_add_co_ci_u32_e32 v3, vcc_lo, s15, v3, vcc_lo
	v_add_co_u32 v2, vcc_lo, v2, v4
	v_add_co_ci_u32_e32 v3, vcc_lo, v3, v5, vcc_lo
	;; [unrolled: 2-line block ×3, first 2 shown]
	global_load_dwordx2 v[2:3], v[2:3], off
	v_add_co_u32 v6, vcc_lo, v4, s8
	v_add_co_ci_u32_e32 v7, vcc_lo, s7, v5, vcc_lo
	v_add_co_u32 v75, vcc_lo, 0x800, v84
	v_add_co_ci_u32_e32 v76, vcc_lo, 0, v83, vcc_lo
	;; [unrolled: 2-line block ×4, first 2 shown]
	s_clause 0x2
	global_load_dwordx2 v[4:5], v[4:5], off
	global_load_dwordx2 v[6:7], v[6:7], off
	;; [unrolled: 1-line block ×3, first 2 shown]
	v_add_co_u32 v12, vcc_lo, v10, s8
	v_add_co_ci_u32_e32 v13, vcc_lo, s7, v11, vcc_lo
	global_load_dwordx2 v[10:11], v[10:11], off
	v_add_co_u32 v14, vcc_lo, v12, s8
	v_add_co_ci_u32_e32 v15, vcc_lo, s7, v13, vcc_lo
	global_load_dwordx2 v[12:13], v[12:13], off
	;; [unrolled: 3-line block ×4, first 2 shown]
	v_add_co_u32 v21, vcc_lo, v19, s8
	v_add_co_ci_u32_e32 v22, vcc_lo, s7, v20, vcc_lo
	global_load_dwordx2 v[69:70], v0, s[0:1] offset:1920
	global_load_dwordx2 v[19:20], v[19:20], off
	global_load_dwordx2 v[71:72], v[75:76], off offset:112
	global_load_dwordx2 v[21:22], v[21:22], off
	v_cmp_eq_u32_e32 vcc_lo, 1, v1
	s_load_dwordx4 s[8:11], s[10:11], 0x0
	v_cndmask_b32_e64 v1, 0, 0x12c, vcc_lo
	v_cmp_gt_u16_e32 vcc_lo, 10, v16
	v_lshlrev_b32_e32 v87, 3, v1
	v_mul_lo_u16 v1, 0xcd, v23
	v_add_nc_u32_e32 v82, v87, v0
	v_lshrrev_b16 v25, 11, v1
	v_add_nc_u32_e32 v29, 0x400, v82
	v_mul_lo_u16 v26, v25, 10
	s_waitcnt vmcnt(11)
	v_mul_f32_e32 v0, v3, v66
	v_mul_f32_e32 v1, v2, v66
	v_fmac_f32_e32 v0, v2, v65
	v_fma_f32 v1, v3, v65, -v1
	s_waitcnt vmcnt(10)
	v_mul_f32_e32 v23, v5, v68
	v_mul_f32_e32 v24, v4, v68
	s_waitcnt vmcnt(9)
	v_mul_f32_e32 v2, v7, v54
	v_mul_f32_e32 v3, v6, v54
	v_fmac_f32_e32 v23, v4, v67
	s_waitcnt vmcnt(8)
	v_mul_f32_e32 v4, v9, v60
	v_fma_f32 v24, v5, v67, -v24
	v_mul_f32_e32 v5, v8, v60
	v_fmac_f32_e32 v2, v6, v53
	s_waitcnt vmcnt(7)
	v_mul_f32_e32 v6, v11, v58
	v_fma_f32 v3, v7, v53, -v3
	;; [unrolled: 5-line block ×3, first 2 shown]
	v_mul_f32_e32 v9, v12, v62
	v_fmac_f32_e32 v6, v10, v57
	v_fma_f32 v7, v11, v57, -v7
	s_waitcnt vmcnt(5)
	v_mul_f32_e32 v10, v15, v64
	v_mul_f32_e32 v11, v14, v64
	v_fmac_f32_e32 v8, v12, v61
	s_waitcnt vmcnt(4)
	v_mul_f32_e32 v12, v18, v56
	v_fma_f32 v9, v13, v61, -v9
	v_mul_f32_e32 v13, v17, v56
	v_fmac_f32_e32 v10, v14, v63
	v_fma_f32 v11, v15, v63, -v11
	v_fmac_f32_e32 v12, v17, v55
	s_waitcnt vmcnt(2)
	v_mul_f32_e32 v14, v20, v70
	v_mul_f32_e32 v15, v19, v70
	s_waitcnt vmcnt(0)
	v_mul_f32_e32 v17, v22, v72
	v_mul_f32_e32 v27, v21, v72
	v_fma_f32 v13, v18, v55, -v13
	v_fmac_f32_e32 v14, v19, v69
	v_fma_f32 v15, v20, v69, -v15
	v_fmac_f32_e32 v17, v21, v71
	v_fma_f32 v18, v22, v71, -v27
	ds_write2_b64 v82, v[0:1], v[23:24] offset1:30
	ds_write2_b64 v82, v[2:3], v[4:5] offset0:60 offset1:90
	ds_write2_b64 v82, v[6:7], v[8:9] offset0:120 offset1:150
	;; [unrolled: 1-line block ×4, first 2 shown]
	v_mul_lo_u16 v17, v16, 10
	v_sub_nc_u16 v18, v16, v26
	s_waitcnt lgkmcnt(0)
	s_barrier
	buffer_gl0_inv
	v_and_b32_e32 v17, 0xffff, v17
	ds_read2_b64 v[0:3], v82 offset1:30
	ds_read2_b64 v[4:7], v82 offset0:60 offset1:90
	ds_read2_b64 v[8:11], v82 offset0:120 offset1:150
	;; [unrolled: 1-line block ×3, first 2 shown]
	v_and_b32_e32 v30, 0xff, v18
	v_lshl_add_u32 v85, v17, 3, v87
	ds_read2_b64 v[17:20], v29 offset0:112 offset1:142
	v_mad_u64_u32 v[21:22], null, 0x48, v30, s[2:3]
	s_waitcnt lgkmcnt(0)
	s_barrier
	buffer_gl0_inv
	v_add_f32_e32 v31, v1, v5
	v_add_f32_e32 v36, v2, v6
	;; [unrolled: 1-line block ×5, first 2 shown]
	v_sub_f32_e32 v44, v7, v11
	v_sub_f32_e32 v45, v11, v7
	;; [unrolled: 1-line block ×3, first 2 shown]
	v_add_f32_e32 v49, v6, v19
	v_add_f32_e32 v7, v7, v20
	;; [unrolled: 1-line block ×3, first 2 shown]
	v_sub_f32_e32 v26, v9, v13
	v_add_f32_e32 v32, v9, v13
	v_sub_f32_e32 v34, v5, v9
	v_sub_f32_e32 v35, v9, v5
	v_sub_f32_e32 v39, v11, v15
	v_sub_f32_e32 v40, v6, v10
	v_sub_f32_e32 v41, v10, v6
	v_sub_f32_e32 v43, v10, v14
	v_sub_f32_e32 v46, v5, v18
	v_add_f32_e32 v5, v5, v18
	v_add_f32_e32 v9, v31, v9
	;; [unrolled: 1-line block ×4, first 2 shown]
	v_fma_f32 v31, -0.5, v42, v3
	v_fmac_f32_e32 v3, -0.5, v7
	v_fma_f32 v37, -0.5, v49, v2
	v_fma_f32 v2, -0.5, v38, v2
	v_add_f32_e32 v24, v8, v12
	v_sub_f32_e32 v6, v6, v19
	v_sub_f32_e32 v27, v4, v8
	;; [unrolled: 1-line block ×4, first 2 shown]
	v_add_f32_e32 v47, v4, v17
	v_sub_f32_e32 v50, v17, v12
	v_sub_f32_e32 v51, v12, v17
	;; [unrolled: 1-line block ×7, first 2 shown]
	v_add_f32_e32 v8, v23, v8
	v_fma_f32 v32, -0.5, v32, v1
	v_fma_f32 v42, -0.5, v5, v1
	v_add_f32_e32 v1, v9, v13
	v_add_f32_e32 v7, v10, v14
	v_fmamk_f32 v9, v39, 0xbf737871, v37
	v_fmac_f32_e32 v37, 0x3f737871, v39
	v_fmamk_f32 v10, v43, 0x3f737871, v3
	v_fmamk_f32 v13, v48, 0x3f737871, v2
	v_fma_f32 v24, -0.5, v24, v0
	v_fmac_f32_e32 v3, 0xbf737871, v43
	v_fmac_f32_e32 v2, 0xbf737871, v48
	v_sub_f32_e32 v79, v20, v15
	v_fmamk_f32 v14, v6, 0xbf737871, v31
	v_fmac_f32_e32 v31, 0x3f737871, v6
	v_sub_f32_e32 v4, v4, v17
	v_add_f32_e32 v23, v41, v78
	v_add_f32_e32 v36, v45, v80
	v_fma_f32 v41, -0.5, v47, v0
	v_add_f32_e32 v5, v27, v50
	v_add_f32_e32 v27, v28, v51
	;; [unrolled: 1-line block ×5, first 2 shown]
	v_fmac_f32_e32 v37, 0xbf167918, v48
	v_fmac_f32_e32 v13, 0x3f167918, v39
	;; [unrolled: 1-line block ×3, first 2 shown]
	v_fmamk_f32 v11, v46, 0x3f737871, v24
	v_fmac_f32_e32 v24, 0xbf737871, v46
	v_fmac_f32_e32 v3, 0x3f167918, v6
	;; [unrolled: 1-line block ×4, first 2 shown]
	v_add_f32_e32 v38, v44, v79
	v_fmac_f32_e32 v31, 0x3f167918, v43
	v_fmamk_f32 v12, v26, 0xbf737871, v41
	v_fmac_f32_e32 v41, 0x3f737871, v26
	v_fmamk_f32 v15, v4, 0xbf737871, v32
	v_fmamk_f32 v40, v33, 0x3f737871, v42
	v_fmac_f32_e32 v42, 0xbf737871, v33
	v_add_f32_e32 v17, v0, v17
	v_add_f32_e32 v18, v1, v18
	;; [unrolled: 1-line block ×4, first 2 shown]
	v_fmac_f32_e32 v14, 0xbf167918, v43
	v_fmac_f32_e32 v37, 0x3e9e377a, v23
	;; [unrolled: 1-line block ×11, first 2 shown]
	v_add_f32_e32 v34, v34, v73
	v_fmac_f32_e32 v12, 0x3f167918, v46
	v_fmac_f32_e32 v41, 0xbf167918, v46
	;; [unrolled: 1-line block ×5, first 2 shown]
	v_add_f32_e32 v0, v17, v7
	v_add_f32_e32 v1, v18, v8
	v_sub_f32_e32 v6, v17, v7
	v_sub_f32_e32 v7, v18, v8
	v_fmac_f32_e32 v14, 0x3e9e377a, v38
	v_mul_f32_e32 v4, 0x3e9e377a, v37
	v_mul_f32_e32 v8, 0x3f4f1bbd, v13
	;; [unrolled: 1-line block ×4, first 2 shown]
	v_add_f32_e32 v35, v35, v74
	v_fmac_f32_e32 v11, 0x3e9e377a, v5
	v_fmac_f32_e32 v24, 0x3e9e377a, v5
	v_mul_f32_e32 v5, 0x3e9e377a, v3
	v_mul_f32_e32 v18, 0x3f4f1bbd, v2
	;; [unrolled: 1-line block ×3, first 2 shown]
	v_fmac_f32_e32 v32, 0x3f167918, v33
	v_mul_f32_e32 v19, 0x3f4f1bbd, v31
	v_fmac_f32_e32 v12, 0x3e9e377a, v27
	v_fmac_f32_e32 v41, 0x3e9e377a, v27
	;; [unrolled: 1-line block ×3, first 2 shown]
	v_fma_f32 v3, 0x3f737871, v3, -v4
	v_fmac_f32_e32 v8, 0x3f167918, v14
	v_fmac_f32_e32 v17, 0x3e9e377a, v9
	v_fmac_f32_e32 v13, 0x3f4f1bbd, v14
	v_fmac_f32_e32 v40, 0x3e9e377a, v35
	v_fmac_f32_e32 v42, 0x3e9e377a, v35
	v_fma_f32 v9, 0x3f167918, v31, -v18
	v_fmac_f32_e32 v20, 0x3e9e377a, v10
	v_fma_f32 v18, 0xbf737871, v37, -v5
	v_fmac_f32_e32 v32, 0x3e9e377a, v34
	v_fma_f32 v23, 0xbf167918, v2, -v19
	v_add_f32_e32 v2, v11, v8
	v_sub_f32_e32 v10, v12, v17
	v_add_f32_e32 v12, v12, v17
	v_add_f32_e32 v14, v41, v3
	v_sub_f32_e32 v17, v41, v3
	v_add_f32_e32 v3, v15, v13
	v_add_f32_e32 v4, v24, v9
	v_sub_f32_e32 v19, v24, v9
	v_sub_f32_e32 v9, v15, v13
	v_add_f32_e32 v13, v40, v20
	v_add_f32_e32 v15, v42, v18
	;; [unrolled: 1-line block ×3, first 2 shown]
	v_sub_f32_e32 v8, v11, v8
	v_sub_f32_e32 v11, v40, v20
	;; [unrolled: 1-line block ×4, first 2 shown]
	ds_write_b128 v85, v[0:3]
	ds_write_b128 v85, v[12:15] offset:16
	ds_write_b128 v85, v[4:7] offset:32
	;; [unrolled: 1-line block ×4, first 2 shown]
	s_waitcnt lgkmcnt(0)
	s_barrier
	buffer_gl0_inv
	s_clause 0x4
	global_load_dwordx4 v[8:11], v[21:22], off
	global_load_dwordx4 v[4:7], v[21:22], off offset:16
	global_load_dwordx4 v[0:3], v[21:22], off offset:32
	;; [unrolled: 1-line block ×3, first 2 shown]
	global_load_dwordx2 v[73:74], v[21:22], off offset:64
	v_mov_b32_e32 v26, 0x64
	ds_read2_b64 v[17:20], v82 offset0:60 offset1:90
	ds_read2_b64 v[21:24], v82 offset0:120 offset1:150
	v_mul_u32_u24_sdwa v31, v25, v26 dst_sel:DWORD dst_unused:UNUSED_PAD src0_sel:WORD_0 src1_sel:DWORD
	ds_read2_b64 v[25:28], v82 offset0:180 offset1:210
	v_add_nc_u32_e32 v33, v31, v30
	ds_read2_b64 v[29:32], v29 offset0:112 offset1:142
	v_lshl_add_u32 v86, v33, 3, v87
	ds_read2_b64 v[33:36], v82 offset1:30
	s_waitcnt vmcnt(0) lgkmcnt(0)
	s_barrier
	buffer_gl0_inv
	v_mul_f32_e32 v37, v18, v11
	v_mul_f32_e32 v38, v17, v11
	v_mul_f32_e32 v39, v20, v5
	v_mul_f32_e32 v40, v19, v5
	v_mul_f32_e32 v41, v22, v7
	v_mul_f32_e32 v42, v21, v7
	v_mul_f32_e32 v43, v24, v1
	v_mul_f32_e32 v44, v23, v1
	v_mul_f32_e32 v45, v26, v3
	v_mul_f32_e32 v46, v25, v3
	v_mul_f32_e32 v47, v28, v13
	v_mul_f32_e32 v48, v27, v13
	v_mul_f32_e32 v49, v30, v15
	v_mul_f32_e32 v50, v29, v15
	v_mul_f32_e32 v51, v32, v74
	v_mul_f32_e32 v77, v31, v74
	v_mul_f32_e32 v78, v36, v9
	v_mul_f32_e32 v79, v35, v9
	v_fma_f32 v17, v17, v10, -v37
	v_fmac_f32_e32 v38, v18, v10
	v_fma_f32 v18, v19, v4, -v39
	v_fmac_f32_e32 v40, v20, v4
	;; [unrolled: 2-line block ×9, first 2 shown]
	v_add_f32_e32 v26, v19, v21
	v_add_f32_e32 v28, v42, v46
	;; [unrolled: 1-line block ×3, first 2 shown]
	v_sub_f32_e32 v32, v17, v19
	v_sub_f32_e32 v35, v23, v21
	v_add_f32_e32 v47, v20, v22
	v_add_f32_e32 v49, v44, v48
	;; [unrolled: 1-line block ×3, first 2 shown]
	v_sub_f32_e32 v39, v18, v20
	v_sub_f32_e32 v43, v40, v44
	;; [unrolled: 1-line block ×4, first 2 shown]
	v_add_f32_e32 v89, v25, v18
	v_add_f32_e32 v90, v79, v40
	v_sub_f32_e32 v97, v20, v18
	v_add_f32_e32 v18, v18, v24
	v_sub_f32_e32 v99, v44, v40
	v_add_f32_e32 v40, v40, v77
	v_add_f32_e32 v27, v17, v23
	;; [unrolled: 1-line block ×3, first 2 shown]
	v_sub_f32_e32 v41, v24, v22
	v_fma_f32 v101, -0.5, v26, v33
	v_fma_f32 v102, -0.5, v28, v34
	;; [unrolled: 1-line block ×3, first 2 shown]
	v_add_f32_e32 v26, v32, v35
	v_fma_f32 v32, -0.5, v47, v25
	v_fma_f32 v34, -0.5, v49, v79
	v_sub_f32_e32 v78, v20, v22
	v_sub_f32_e32 v88, v44, v48
	;; [unrolled: 1-line block ×6, first 2 shown]
	v_add_f32_e32 v19, v30, v19
	v_add_f32_e32 v20, v89, v20
	v_fmac_f32_e32 v25, -0.5, v18
	v_fmac_f32_e32 v79, -0.5, v40
	v_sub_f32_e32 v45, v77, v48
	v_sub_f32_e32 v92, v42, v46
	v_fma_f32 v33, -0.5, v27, v33
	v_add_f32_e32 v28, v39, v41
	v_fmamk_f32 v39, v51, 0xbf737871, v34
	v_fmamk_f32 v40, v80, 0x3f737871, v32
	v_sub_f32_e32 v36, v38, v42
	v_sub_f32_e32 v37, v50, v46
	v_sub_f32_e32 v91, v38, v50
	v_sub_f32_e32 v38, v42, v38
	v_sub_f32_e32 v96, v46, v50
	v_sub_f32_e32 v98, v22, v24
	v_sub_f32_e32 v100, v48, v77
	v_add_f32_e32 v35, v17, v95
	v_add_f32_e32 v17, v19, v21
	v_add_f32_e32 v19, v20, v22
	v_fmamk_f32 v21, v88, 0xbf737871, v25
	v_fmac_f32_e32 v25, 0x3f737871, v88
	v_fmamk_f32 v22, v78, 0x3f737871, v79
	v_fmac_f32_e32 v79, 0xbf737871, v78
	v_add_f32_e32 v30, v31, v42
	v_add_f32_e32 v31, v90, v44
	v_fmac_f32_e32 v32, 0xbf737871, v80
	v_fmac_f32_e32 v34, 0x3f737871, v51
	v_add_f32_e32 v29, v43, v45
	v_fmamk_f32 v41, v92, 0xbf737871, v33
	v_fmac_f32_e32 v33, 0x3f737871, v92
	v_fmac_f32_e32 v39, 0xbf167918, v78
	v_fmac_f32_e32 v40, 0x3f167918, v88
	v_add_f32_e32 v27, v36, v37
	v_add_f32_e32 v36, v38, v96
	;; [unrolled: 1-line block ×4, first 2 shown]
	v_fmamk_f32 v42, v94, 0x3f737871, v103
	v_fmac_f32_e32 v103, 0xbf737871, v94
	v_fmac_f32_e32 v21, 0x3f167918, v80
	;; [unrolled: 1-line block ×5, first 2 shown]
	v_add_f32_e32 v18, v30, v46
	v_add_f32_e32 v20, v31, v48
	v_fmamk_f32 v30, v91, 0x3f737871, v101
	v_fmamk_f32 v31, v93, 0xbf737871, v102
	v_fmac_f32_e32 v101, 0xbf737871, v91
	v_fmac_f32_e32 v102, 0x3f737871, v93
	;; [unrolled: 1-line block ×8, first 2 shown]
	v_add_f32_e32 v23, v17, v23
	v_add_f32_e32 v19, v19, v24
	v_fmac_f32_e32 v42, 0xbf167918, v93
	v_fmac_f32_e32 v103, 0x3f167918, v93
	;; [unrolled: 1-line block ×14, first 2 shown]
	v_mul_f32_e32 v29, 0x3f167918, v39
	v_mul_f32_e32 v35, 0xbf167918, v40
	v_add_f32_e32 v17, v23, v19
	v_fmac_f32_e32 v42, 0x3e9e377a, v36
	v_fmac_f32_e32 v103, 0x3e9e377a, v36
	v_sub_f32_e32 v19, v23, v19
	v_mul_f32_e32 v36, 0x3f737871, v22
	v_mul_f32_e32 v37, 0xbf737871, v21
	;; [unrolled: 1-line block ×4, first 2 shown]
	v_add_f32_e32 v43, v18, v50
	v_add_f32_e32 v20, v20, v77
	v_fmac_f32_e32 v30, 0x3e9e377a, v26
	v_fmac_f32_e32 v31, 0x3e9e377a, v27
	;; [unrolled: 1-line block ×4, first 2 shown]
	v_mul_f32_e32 v26, 0x3f4f1bbd, v32
	v_mul_f32_e32 v27, 0x3f4f1bbd, v34
	v_fmac_f32_e32 v29, 0x3f4f1bbd, v40
	v_fmac_f32_e32 v35, 0x3f4f1bbd, v39
	;; [unrolled: 1-line block ×4, first 2 shown]
	v_fma_f32 v38, 0x3f737871, v79, -v23
	v_fma_f32 v39, 0xbf737871, v25, -v24
	v_add_f32_e32 v18, v43, v20
	v_sub_f32_e32 v20, v43, v20
	v_fma_f32 v40, 0x3f167918, v34, -v26
	v_fma_f32 v43, 0xbf167918, v32, -v27
	v_add_f32_e32 v21, v30, v29
	v_add_f32_e32 v22, v31, v35
	;; [unrolled: 1-line block ×8, first 2 shown]
	v_sub_f32_e32 v29, v30, v29
	v_sub_f32_e32 v30, v31, v35
	;; [unrolled: 1-line block ×8, first 2 shown]
	ds_write2_b64 v86, v[17:18], v[21:22] offset1:10
	ds_write2_b64 v86, v[23:24], v[25:26] offset0:20 offset1:30
	ds_write2_b64 v86, v[27:28], v[19:20] offset0:40 offset1:50
	;; [unrolled: 1-line block ×4, first 2 shown]
	s_waitcnt lgkmcnt(0)
	s_barrier
	buffer_gl0_inv
	ds_read2_b64 v[40:43], v82 offset1:30
	ds_read_b64 v[79:80], v82 offset:2080
	ds_read2_b64 v[36:39], v82 offset0:60 offset1:100
	ds_read2_b64 v[48:51], v82 offset0:200 offset1:230
	;; [unrolled: 1-line block ×3, first 2 shown]
                                        ; implicit-def: $vgpr77
	s_and_saveexec_b32 s0, vcc_lo
	s_cbranch_execz .LBB0_3
; %bb.2:
	ds_read2_b64 v[32:35], v82 offset0:90 offset1:190
	ds_read_b64 v[77:78], v82 offset:2320
.LBB0_3:
	s_or_b32 exec_lo, exec_lo, s0
	v_lshlrev_b32_e32 v16, 4, v81
	v_lshl_add_u32 v87, v81, 3, v87
	v_add_nc_u32_e32 v17, 0x1e0, v16
	global_load_dwordx4 v[24:27], v16, s[2:3] offset:720
	v_add_nc_u32_e32 v16, 0x3c0, v16
	s_clause 0x1
	global_load_dwordx4 v[28:31], v17, s[2:3] offset:720
	global_load_dwordx4 v[20:23], v16, s[2:3] offset:720
	v_add_co_u32 v16, s0, 0x5a, v81
	v_add_co_ci_u32_e64 v17, null, 0, 0, s0
	v_add_co_u32 v18, s0, v81, -10
	v_add_co_ci_u32_e64 v19, null, 0, -1, s0
	v_cndmask_b32_e32 v16, v18, v16, vcc_lo
	v_cndmask_b32_e32 v17, v19, v17, vcc_lo
	v_lshlrev_b64 v[16:17], 4, v[16:17]
	v_add_co_u32 v16, s0, s2, v16
	v_add_co_ci_u32_e64 v17, s0, s3, v17, s0
	global_load_dwordx4 v[16:19], v[16:17], off offset:720
	s_waitcnt vmcnt(3) lgkmcnt(2)
	v_mul_f32_e32 v88, v39, v25
	v_mul_f32_e32 v89, v38, v25
	s_waitcnt lgkmcnt(1)
	v_mul_f32_e32 v90, v49, v27
	v_mul_f32_e32 v91, v48, v27
	v_fma_f32 v38, v38, v24, -v88
	v_fmac_f32_e32 v89, v39, v24
	v_fma_f32 v39, v48, v26, -v90
	v_fmac_f32_e32 v91, v49, v26
	s_waitcnt vmcnt(2) lgkmcnt(0)
	v_mul_f32_e32 v48, v45, v29
	v_mul_f32_e32 v88, v44, v29
	;; [unrolled: 1-line block ×4, first 2 shown]
	s_waitcnt vmcnt(1)
	v_mul_f32_e32 v92, v47, v21
	v_mul_f32_e32 v93, v46, v21
	;; [unrolled: 1-line block ×4, first 2 shown]
	v_fma_f32 v44, v44, v28, -v48
	v_fmac_f32_e32 v88, v45, v28
	v_fma_f32 v45, v50, v30, -v49
	v_fmac_f32_e32 v90, v51, v30
	;; [unrolled: 2-line block ×3, first 2 shown]
	v_fma_f32 v92, v79, v22, -v94
	v_add_f32_e32 v46, v40, v38
	v_add_f32_e32 v47, v38, v39
	;; [unrolled: 1-line block ×4, first 2 shown]
	v_fmac_f32_e32 v95, v80, v22
	v_sub_f32_e32 v51, v89, v91
	v_sub_f32_e32 v38, v38, v39
	v_add_f32_e32 v46, v46, v39
	v_fma_f32 v48, -0.5, v47, v40
	v_add_f32_e32 v47, v49, v91
	v_fma_f32 v49, -0.5, v79, v41
	v_add_f32_e32 v39, v42, v44
	v_add_f32_e32 v80, v44, v45
	v_sub_f32_e32 v91, v88, v90
	v_add_f32_e32 v89, v43, v88
	v_add_f32_e32 v88, v88, v90
	v_sub_f32_e32 v94, v44, v45
	v_add_f32_e32 v44, v36, v50
	s_waitcnt vmcnt(0)
	v_mul_f32_e32 v100, v35, v17
	v_mul_f32_e32 v41, v34, v17
	;; [unrolled: 1-line block ×4, first 2 shown]
	v_add_f32_e32 v79, v39, v45
	v_fmac_f32_e32 v43, -0.5, v88
	v_add_f32_e32 v88, v44, v92
	v_fma_f32 v44, v34, v16, -v100
	v_fmac_f32_e32 v41, v35, v16
	v_fma_f32 v45, v77, v18, -v101
	v_fmac_f32_e32 v40, v78, v18
	v_sub_f32_e32 v97, v93, v95
	v_add_f32_e32 v98, v37, v93
	v_add_f32_e32 v93, v93, v95
	;; [unrolled: 1-line block ×5, first 2 shown]
	v_sub_f32_e32 v99, v50, v92
	v_fmamk_f32 v50, v51, 0x3f5db3d7, v48
	v_fmac_f32_e32 v48, 0xbf5db3d7, v51
	v_fmamk_f32 v51, v38, 0xbf5db3d7, v49
	v_fmac_f32_e32 v49, 0x3f5db3d7, v38
	v_fmac_f32_e32 v37, -0.5, v93
	v_sub_f32_e32 v92, v41, v40
	v_fma_f32 v38, -0.5, v34, v32
	v_sub_f32_e32 v93, v44, v45
	v_fma_f32 v39, -0.5, v35, v33
	v_fma_f32 v42, -0.5, v80, v42
	;; [unrolled: 1-line block ×3, first 2 shown]
	v_add_f32_e32 v80, v89, v90
	v_fmamk_f32 v34, v92, 0x3f5db3d7, v38
	v_fmac_f32_e32 v38, 0xbf5db3d7, v92
	v_fmamk_f32 v35, v93, 0xbf5db3d7, v39
	v_fmac_f32_e32 v39, 0x3f5db3d7, v93
	v_fmamk_f32 v77, v91, 0x3f5db3d7, v42
	v_fmamk_f32 v78, v94, 0xbf5db3d7, v43
	v_fmac_f32_e32 v42, 0xbf5db3d7, v91
	v_fmac_f32_e32 v43, 0x3f5db3d7, v94
	v_add_f32_e32 v89, v98, v95
	v_fmamk_f32 v90, v97, 0x3f5db3d7, v36
	v_fmamk_f32 v91, v99, 0xbf5db3d7, v37
	v_fmac_f32_e32 v36, 0xbf5db3d7, v97
	v_fmac_f32_e32 v37, 0x3f5db3d7, v99
	ds_write_b64 v87, v[50:51] offset:800
	ds_write_b64 v87, v[48:49] offset:1600
	ds_write2_b64 v82, v[46:47], v[79:80] offset1:30
	ds_write_b64 v87, v[77:78] offset:1040
	ds_write_b64 v87, v[42:43] offset:1840
	ds_write2_b64 v82, v[88:89], v[90:91] offset0:60 offset1:160
	ds_write_b64 v82, v[36:37] offset:2080
	s_and_saveexec_b32 s0, vcc_lo
	s_cbranch_execz .LBB0_5
; %bb.4:
	v_add_f32_e32 v33, v33, v41
	v_add_f32_e32 v32, v32, v44
	v_add_nc_u32_e32 v36, 0x400, v87
	v_add_f32_e32 v33, v33, v40
	v_add_f32_e32 v32, v32, v45
	ds_write_b64 v82, v[32:33] offset:720
	ds_write2_b64 v36, v[34:35], v[38:39] offset0:62 offset1:162
.LBB0_5:
	s_or_b32 exec_lo, exec_lo, s0
	s_waitcnt lgkmcnt(0)
	s_barrier
	buffer_gl0_inv
	global_load_dwordx2 v[32:33], v[75:76], off offset:352
	v_add_co_u32 v36, s0, 0x960, v84
	v_add_co_ci_u32_e64 v37, s0, 0, v83, s0
	v_add_co_u32 v40, s0, 0x1000, v84
	v_add_co_ci_u32_e64 v41, s0, 0, v83, s0
	s_clause 0x8
	global_load_dwordx2 v[79:80], v[36:37], off offset:240
	global_load_dwordx2 v[92:93], v[36:37], off offset:480
	;; [unrolled: 1-line block ×9, first 2 shown]
	ds_read2_b64 v[40:43], v82 offset1:30
	ds_read2_b64 v[44:47], v82 offset0:60 offset1:90
	ds_read2_b64 v[48:51], v82 offset0:120 offset1:150
	v_add_nc_u32_e32 v106, 0x400, v82
	ds_read2_b64 v[75:78], v82 offset0:180 offset1:210
	ds_read2_b64 v[88:91], v106 offset0:112 offset1:142
	s_waitcnt vmcnt(9) lgkmcnt(4)
	v_mul_f32_e32 v104, v41, v33
	v_mul_f32_e32 v105, v40, v33
	v_fma_f32 v104, v40, v32, -v104
	v_fmac_f32_e32 v105, v41, v32
	s_waitcnt vmcnt(8)
	v_mul_f32_e32 v32, v43, v80
	v_mul_f32_e32 v33, v42, v80
	s_waitcnt vmcnt(7) lgkmcnt(3)
	v_mul_f32_e32 v40, v45, v93
	v_mul_f32_e32 v41, v44, v93
	s_waitcnt vmcnt(6)
	v_mul_f32_e32 v107, v47, v95
	v_mul_f32_e32 v80, v46, v95
	s_waitcnt vmcnt(5) lgkmcnt(2)
	v_mul_f32_e32 v108, v49, v97
	v_mul_f32_e32 v93, v48, v97
	;; [unrolled: 6-line block ×4, first 2 shown]
	s_waitcnt vmcnt(0)
	v_mul_f32_e32 v112, v91, v103
	v_mul_f32_e32 v37, v90, v103
	v_fma_f32 v32, v42, v79, -v32
	v_fmac_f32_e32 v33, v43, v79
	v_fma_f32 v40, v44, v92, -v40
	v_fmac_f32_e32 v41, v45, v92
	;; [unrolled: 2-line block ×9, first 2 shown]
	ds_write2_b64 v82, v[104:105], v[32:33] offset1:30
	ds_write2_b64 v82, v[40:41], v[79:80] offset0:60 offset1:90
	ds_write2_b64 v82, v[92:93], v[94:95] offset0:120 offset1:150
	;; [unrolled: 1-line block ×4, first 2 shown]
	s_waitcnt lgkmcnt(0)
	s_barrier
	buffer_gl0_inv
	ds_read2_b64 v[40:43], v82 offset1:30
	ds_read2_b64 v[44:47], v82 offset0:60 offset1:90
	ds_read2_b64 v[48:51], v82 offset0:120 offset1:150
	ds_read2_b64 v[75:78], v82 offset0:180 offset1:210
	ds_read2_b64 v[88:91], v106 offset0:112 offset1:142
	s_waitcnt lgkmcnt(0)
	s_barrier
	buffer_gl0_inv
	v_add_f32_e32 v32, v40, v44
	v_sub_f32_e32 v79, v44, v48
	v_add_f32_e32 v33, v48, v75
	v_sub_f32_e32 v36, v45, v89
	v_sub_f32_e32 v80, v88, v75
	v_add_f32_e32 v83, v44, v88
	v_sub_f32_e32 v84, v48, v44
	v_sub_f32_e32 v92, v75, v88
	v_add_f32_e32 v93, v41, v45
	v_add_f32_e32 v94, v49, v76
	v_sub_f32_e32 v96, v45, v49
	v_add_f32_e32 v98, v45, v89
	v_sub_f32_e32 v45, v49, v45
	v_sub_f32_e32 v99, v76, v89
	v_add_f32_e32 v100, v42, v46
	v_add_f32_e32 v101, v50, v77
	;; [unrolled: 1-line block ×5, first 2 shown]
	v_sub_f32_e32 v95, v48, v75
	v_sub_f32_e32 v102, v47, v91
	;; [unrolled: 1-line block ×4, first 2 shown]
	v_add_f32_e32 v107, v46, v90
	v_sub_f32_e32 v108, v50, v46
	v_sub_f32_e32 v46, v46, v90
	;; [unrolled: 1-line block ×5, first 2 shown]
	v_add_f32_e32 v32, v32, v48
	v_fma_f32 v33, -0.5, v33, v40
	v_add_f32_e32 v48, v79, v80
	v_fma_f32 v79, -0.5, v83, v40
	;; [unrolled: 2-line block ×3, first 2 shown]
	v_fma_f32 v84, -0.5, v98, v41
	v_add_f32_e32 v41, v45, v99
	v_add_f32_e32 v45, v100, v50
	v_fma_f32 v50, -0.5, v101, v42
	v_add_f32_e32 v51, v110, v51
	v_fma_f32 v94, -0.5, v111, v43
	v_fmac_f32_e32 v43, -0.5, v115
	v_sub_f32_e32 v37, v49, v76
	v_sub_f32_e32 v97, v89, v76
	v_sub_f32_e32 v105, v90, v77
	v_sub_f32_e32 v109, v77, v90
	v_sub_f32_e32 v114, v91, v78
	v_sub_f32_e32 v116, v78, v91
	v_add_f32_e32 v45, v45, v77
	v_fmamk_f32 v77, v102, 0xbf737871, v50
	v_add_f32_e32 v51, v51, v78
	v_fmamk_f32 v78, v46, 0x3f737871, v94
	v_add_f32_e32 v49, v93, v49
	v_fma_f32 v42, -0.5, v107, v42
	v_fmamk_f32 v100, v112, 0xbf737871, v43
	v_fmac_f32_e32 v43, 0x3f737871, v112
	v_sub_f32_e32 v44, v44, v88
	v_fmac_f32_e32 v94, 0xbf737871, v46
	v_add_f32_e32 v83, v96, v97
	v_add_f32_e32 v92, v104, v105
	;; [unrolled: 1-line block ×4, first 2 shown]
	v_fmamk_f32 v75, v36, 0xbf737871, v33
	v_fmac_f32_e32 v33, 0x3f737871, v36
	v_fmamk_f32 v97, v37, 0x3f737871, v79
	v_fmac_f32_e32 v79, 0xbf737871, v37
	v_fmac_f32_e32 v77, 0xbf167918, v103
	;; [unrolled: 1-line block ×3, first 2 shown]
	v_add_f32_e32 v47, v47, v116
	v_add_f32_e32 v49, v49, v76
	v_fmamk_f32 v98, v95, 0xbf737871, v84
	v_fmac_f32_e32 v84, 0x3f737871, v95
	v_fmac_f32_e32 v50, 0x3f737871, v102
	v_fmamk_f32 v99, v103, 0x3f737871, v42
	v_fmac_f32_e32 v42, 0xbf737871, v103
	v_fmac_f32_e32 v100, 0x3f167918, v46
	;; [unrolled: 1-line block ×3, first 2 shown]
	v_fmamk_f32 v76, v44, 0x3f737871, v80
	v_fmac_f32_e32 v80, 0xbf737871, v44
	v_fmac_f32_e32 v94, 0xbf167918, v112
	v_add_f32_e32 v32, v32, v88
	v_fmac_f32_e32 v75, 0xbf167918, v37
	v_fmac_f32_e32 v33, 0x3f167918, v37
	;; [unrolled: 1-line block ×4, first 2 shown]
	v_add_f32_e32 v37, v45, v90
	v_fmac_f32_e32 v77, 0x3e9e377a, v92
	v_fmac_f32_e32 v78, 0x3e9e377a, v96
	v_add_f32_e32 v93, v108, v109
	v_add_f32_e32 v36, v49, v89
	v_fmac_f32_e32 v98, 0x3f167918, v44
	v_fmac_f32_e32 v84, 0xbf167918, v44
	;; [unrolled: 1-line block ×5, first 2 shown]
	v_add_f32_e32 v44, v51, v91
	v_fmac_f32_e32 v100, 0x3e9e377a, v47
	v_fmac_f32_e32 v43, 0x3e9e377a, v47
	;; [unrolled: 1-line block ×7, first 2 shown]
	v_add_f32_e32 v40, v32, v37
	v_sub_f32_e32 v46, v32, v37
	v_mul_f32_e32 v32, 0xbf167918, v78
	v_mul_f32_e32 v89, 0x3f167918, v77
	v_fmac_f32_e32 v98, 0x3e9e377a, v41
	v_fmac_f32_e32 v84, 0x3e9e377a, v41
	;; [unrolled: 1-line block ×5, first 2 shown]
	v_add_f32_e32 v41, v36, v44
	v_sub_f32_e32 v47, v36, v44
	v_mul_f32_e32 v36, 0xbf737871, v100
	v_mul_f32_e32 v37, 0xbf737871, v43
	;; [unrolled: 1-line block ×4, first 2 shown]
	v_fmac_f32_e32 v76, 0x3e9e377a, v83
	v_fmac_f32_e32 v80, 0x3e9e377a, v83
	v_mul_f32_e32 v83, 0xbf167918, v94
	v_mul_f32_e32 v93, 0xbf4f1bbd, v94
	v_fmac_f32_e32 v75, 0x3e9e377a, v48
	v_fmac_f32_e32 v32, 0x3f4f1bbd, v77
	v_fmac_f32_e32 v89, 0x3f4f1bbd, v78
	v_fmac_f32_e32 v36, 0x3e9e377a, v99
	v_fmac_f32_e32 v37, 0xbe9e377a, v42
	v_fmac_f32_e32 v91, 0x3f737871, v99
	v_fmac_f32_e32 v92, 0x3f737871, v42
	v_fmac_f32_e32 v33, 0x3e9e377a, v48
	v_fmac_f32_e32 v83, 0xbf4f1bbd, v50
	v_fmac_f32_e32 v93, 0x3f167918, v50
	v_add_f32_e32 v42, v75, v32
	v_add_f32_e32 v43, v76, v89
	;; [unrolled: 1-line block ×8, first 2 shown]
	v_sub_f32_e32 v75, v75, v32
	v_sub_f32_e32 v77, v97, v36
	;; [unrolled: 1-line block ×8, first 2 shown]
	ds_write_b128 v85, v[40:43]
	ds_write_b128 v85, v[48:51] offset:16
	ds_write_b128 v85, v[44:47] offset:32
	;; [unrolled: 1-line block ×4, first 2 shown]
	s_waitcnt lgkmcnt(0)
	s_barrier
	buffer_gl0_inv
	ds_read2_b64 v[40:43], v82 offset1:30
	ds_read2_b64 v[44:47], v82 offset0:60 offset1:90
	ds_read2_b64 v[48:51], v82 offset0:120 offset1:150
	;; [unrolled: 1-line block ×4, first 2 shown]
	s_waitcnt lgkmcnt(0)
	s_barrier
	buffer_gl0_inv
	v_mul_f32_e32 v32, v9, v43
	v_mul_f32_e32 v9, v9, v42
	;; [unrolled: 1-line block ×18, first 2 shown]
	v_fmac_f32_e32 v32, v8, v42
	v_fma_f32 v8, v8, v43, -v9
	v_fmac_f32_e32 v33, v10, v44
	v_fma_f32 v9, v10, v45, -v11
	;; [unrolled: 2-line block ×6, first 2 shown]
	v_fma_f32 v2, v12, v78, -v13
	v_fmac_f32_e32 v84, v14, v88
	v_fma_f32 v3, v14, v89, -v15
	v_fma_f32 v6, v73, v91, -v74
	v_fmac_f32_e32 v83, v12, v77
	v_fmac_f32_e32 v85, v73, v90
	v_add_f32_e32 v7, v40, v33
	v_add_f32_e32 v10, v37, v80
	v_sub_f32_e32 v13, v33, v37
	v_sub_f32_e32 v14, v84, v80
	v_add_f32_e32 v15, v33, v84
	v_sub_f32_e32 v47, v9, v5
	v_sub_f32_e32 v48, v3, v1
	v_add_f32_e32 v91, v0, v2
	v_add_f32_e32 v95, v4, v6
	v_sub_f32_e32 v42, v37, v33
	v_sub_f32_e32 v43, v80, v84
	v_add_f32_e32 v44, v41, v9
	v_sub_f32_e32 v46, v37, v80
	v_add_f32_e32 v51, v32, v36
	v_add_f32_e32 v73, v79, v83
	v_sub_f32_e32 v76, v36, v79
	v_sub_f32_e32 v77, v85, v83
	v_add_f32_e32 v78, v36, v85
	v_sub_f32_e32 v88, v79, v36
	v_sub_f32_e32 v36, v36, v85
	v_add_f32_e32 v7, v7, v37
	v_fma_f32 v37, -0.5, v10, v40
	v_add_f32_e32 v10, v13, v14
	v_fma_f32 v13, -0.5, v15, v40
	;; [unrolled: 2-line block ×3, first 2 shown]
	v_add_f32_e32 v45, v5, v1
	v_add_f32_e32 v90, v8, v4
	v_sub_f32_e32 v92, v79, v83
	v_fmac_f32_e32 v8, -0.5, v95
	v_sub_f32_e32 v11, v9, v3
	v_sub_f32_e32 v12, v5, v1
	v_add_f32_e32 v49, v9, v3
	v_sub_f32_e32 v9, v5, v9
	v_sub_f32_e32 v74, v4, v6
	;; [unrolled: 1-line block ×4, first 2 shown]
	v_add_f32_e32 v14, v42, v43
	v_add_f32_e32 v5, v44, v5
	;; [unrolled: 1-line block ×3, first 2 shown]
	v_fma_f32 v43, -0.5, v73, v32
	v_add_f32_e32 v44, v76, v77
	v_fmamk_f32 v77, v36, 0x3f737871, v47
	v_sub_f32_e32 v33, v33, v84
	v_sub_f32_e32 v50, v1, v3
	;; [unrolled: 1-line block ×5, first 2 shown]
	v_fma_f32 v40, -0.5, v45, v41
	v_fmac_f32_e32 v32, -0.5, v78
	v_fmamk_f32 v78, v92, 0xbf737871, v8
	v_fmac_f32_e32 v8, 0x3f737871, v92
	v_fmac_f32_e32 v47, 0xbf737871, v36
	v_add_f32_e32 v48, v93, v94
	v_add_f32_e32 v1, v5, v1
	;; [unrolled: 1-line block ×3, first 2 shown]
	v_fmamk_f32 v42, v74, 0xbf737871, v43
	v_fmac_f32_e32 v43, 0x3f737871, v74
	v_fmac_f32_e32 v77, 0x3f167918, v92
	v_sub_f32_e32 v89, v83, v85
	v_fma_f32 v41, -0.5, v49, v41
	v_add_f32_e32 v9, v9, v50
	v_add_f32_e32 v4, v4, v96
	v_fmamk_f32 v50, v12, 0x3f737871, v13
	v_fmac_f32_e32 v13, 0xbf737871, v12
	v_fmamk_f32 v51, v33, 0x3f737871, v40
	v_fmac_f32_e32 v40, 0xbf737871, v33
	;; [unrolled: 2-line block ×3, first 2 shown]
	v_fmac_f32_e32 v78, 0x3f167918, v36
	v_fmac_f32_e32 v8, 0xbf167918, v36
	;; [unrolled: 1-line block ×3, first 2 shown]
	v_add_f32_e32 v0, v90, v0
	v_fmamk_f32 v49, v11, 0xbf737871, v37
	v_fmac_f32_e32 v37, 0x3f737871, v11
	v_fmac_f32_e32 v42, 0xbf167918, v75
	v_fmac_f32_e32 v43, 0x3f167918, v75
	v_fmac_f32_e32 v77, 0x3e9e377a, v48
	v_add_f32_e32 v45, v88, v89
	v_fmamk_f32 v73, v46, 0xbf737871, v41
	v_fmac_f32_e32 v41, 0x3f737871, v46
	v_fmac_f32_e32 v50, 0xbf167918, v11
	;; [unrolled: 1-line block ×10, first 2 shown]
	v_add_f32_e32 v7, v7, v80
	v_add_f32_e32 v0, v0, v2
	v_fmac_f32_e32 v49, 0xbf167918, v12
	v_fmac_f32_e32 v37, 0x3f167918, v12
	;; [unrolled: 1-line block ×4, first 2 shown]
	v_mul_f32_e32 v12, 0xbf167918, v77
	v_mul_f32_e32 v44, 0x3f4f1bbd, v77
	v_fmac_f32_e32 v73, 0x3f167918, v33
	v_fmac_f32_e32 v41, 0xbf167918, v33
	;; [unrolled: 1-line block ×8, first 2 shown]
	v_mul_f32_e32 v14, 0xbf737871, v78
	v_mul_f32_e32 v15, 0xbf737871, v8
	;; [unrolled: 1-line block ×6, first 2 shown]
	v_add_f32_e32 v2, v7, v84
	v_add_f32_e32 v3, v1, v3
	;; [unrolled: 1-line block ×4, first 2 shown]
	v_fmac_f32_e32 v49, 0x3e9e377a, v10
	v_fmac_f32_e32 v12, 0x3f4f1bbd, v42
	;; [unrolled: 1-line block ×12, first 2 shown]
	v_add_f32_e32 v0, v2, v5
	v_add_f32_e32 v1, v3, v6
	v_sub_f32_e32 v2, v2, v5
	v_add_f32_e32 v4, v49, v12
	v_add_f32_e32 v5, v51, v44
	v_sub_f32_e32 v3, v3, v6
	v_add_f32_e32 v6, v50, v14
	v_add_f32_e32 v8, v13, v15
	;; [unrolled: 1-line block ×6, first 2 shown]
	v_sub_f32_e32 v12, v49, v12
	v_sub_f32_e32 v14, v50, v14
	;; [unrolled: 1-line block ×8, first 2 shown]
	ds_write2_b64 v86, v[0:1], v[4:5] offset1:10
	ds_write2_b64 v86, v[6:7], v[8:9] offset0:20 offset1:30
	ds_write2_b64 v86, v[10:11], v[2:3] offset0:40 offset1:50
	;; [unrolled: 1-line block ×4, first 2 shown]
	s_waitcnt lgkmcnt(0)
	s_barrier
	buffer_gl0_inv
	ds_read2_b64 v[4:7], v82 offset1:30
	ds_read2_b64 v[0:3], v82 offset0:60 offset1:100
	ds_read2_b64 v[12:15], v82 offset0:200 offset1:230
	;; [unrolled: 1-line block ×3, first 2 shown]
	ds_read_b64 v[36:37], v82 offset:2080
	v_add_nc_u32_e32 v40, 0x1e0, v82
	s_and_saveexec_b32 s0, vcc_lo
	s_cbranch_execz .LBB0_7
; %bb.6:
	ds_read2_b64 v[32:35], v82 offset0:90 offset1:190
	ds_read_b64 v[38:39], v82 offset:2320
.LBB0_7:
	s_or_b32 exec_lo, exec_lo, s0
	s_waitcnt lgkmcnt(3)
	v_mul_f32_e32 v41, v25, v3
	v_mul_f32_e32 v25, v25, v2
	s_waitcnt lgkmcnt(2)
	v_mul_f32_e32 v42, v27, v13
	v_mul_f32_e32 v27, v27, v12
	v_fmac_f32_e32 v41, v24, v2
	v_fma_f32 v3, v24, v3, -v25
	s_waitcnt lgkmcnt(1)
	v_mul_f32_e32 v24, v29, v9
	v_mul_f32_e32 v2, v29, v8
	v_fmac_f32_e32 v42, v26, v12
	v_fma_f32 v12, v26, v13, -v27
	v_mul_f32_e32 v13, v31, v15
	v_fmac_f32_e32 v24, v28, v8
	v_mul_f32_e32 v8, v31, v14
	v_fma_f32 v25, v28, v9, -v2
	v_mul_f32_e32 v26, v21, v11
	v_mul_f32_e32 v2, v21, v10
	v_fmac_f32_e32 v13, v30, v14
	v_fma_f32 v14, v30, v15, -v8
	s_waitcnt lgkmcnt(0)
	v_mul_f32_e32 v8, v23, v36
	v_fmac_f32_e32 v26, v20, v10
	v_fma_f32 v20, v20, v11, -v2
	v_add_f32_e32 v2, v41, v42
	v_add_f32_e32 v9, v4, v41
	v_fma_f32 v21, v22, v37, -v8
	v_add_f32_e32 v8, v3, v12
	v_sub_f32_e32 v10, v3, v12
	v_fma_f32 v2, -0.5, v2, v4
	v_mul_f32_e32 v15, v23, v37
	v_add_f32_e32 v4, v9, v42
	v_add_f32_e32 v9, v5, v3
	v_fma_f32 v3, -0.5, v8, v5
	v_sub_f32_e32 v11, v41, v42
	v_fmamk_f32 v8, v10, 0xbf5db3d7, v2
	v_fmac_f32_e32 v2, 0x3f5db3d7, v10
	v_add_f32_e32 v10, v24, v13
	v_fmac_f32_e32 v15, v22, v36
	v_add_f32_e32 v5, v9, v12
	v_fmamk_f32 v9, v11, 0x3f5db3d7, v3
	v_add_f32_e32 v12, v6, v24
	v_fmac_f32_e32 v3, 0xbf5db3d7, v11
	v_add_f32_e32 v11, v25, v14
	v_fma_f32 v6, -0.5, v10, v6
	v_sub_f32_e32 v22, v25, v14
	v_add_f32_e32 v23, v7, v25
	v_add_f32_e32 v10, v12, v13
	v_fmac_f32_e32 v7, -0.5, v11
	v_sub_f32_e32 v24, v24, v13
	v_fmamk_f32 v12, v22, 0xbf5db3d7, v6
	v_fmac_f32_e32 v6, 0x3f5db3d7, v22
	v_add_f32_e32 v11, v23, v14
	v_add_f32_e32 v14, v26, v15
	;; [unrolled: 1-line block ×3, first 2 shown]
	v_fmamk_f32 v13, v24, 0x3f5db3d7, v7
	v_fmac_f32_e32 v7, 0xbf5db3d7, v24
	v_add_f32_e32 v23, v0, v26
	v_fma_f32 v0, -0.5, v14, v0
	v_sub_f32_e32 v24, v20, v21
	v_add_f32_e32 v25, v1, v20
	v_fmac_f32_e32 v1, -0.5, v22
	v_sub_f32_e32 v22, v26, v15
	v_add_f32_e32 v14, v23, v15
	v_fmamk_f32 v20, v24, 0xbf5db3d7, v0
	v_fmac_f32_e32 v0, 0x3f5db3d7, v24
	v_add_f32_e32 v15, v25, v21
	v_fmamk_f32 v21, v22, 0x3f5db3d7, v1
	v_fmac_f32_e32 v1, 0xbf5db3d7, v22
	ds_write_b64 v82, v[4:5]
	ds_write_b64 v87, v[8:9] offset:800
	ds_write_b64 v87, v[2:3] offset:1600
	ds_write_b64 v82, v[10:11] offset:240
	ds_write_b64 v87, v[12:13] offset:1040
	ds_write_b64 v87, v[6:7] offset:1840
	ds_write_b64 v82, v[14:15] offset:480
	ds_write2_b64 v40, v[20:21], v[0:1] offset0:100 offset1:200
	s_and_saveexec_b32 s0, vcc_lo
	s_cbranch_execz .LBB0_9
; %bb.8:
	v_mul_f32_e32 v0, v17, v34
	v_mul_f32_e32 v1, v19, v38
	v_mul_f32_e32 v2, v17, v35
	v_mul_f32_e32 v6, v19, v39
	v_fma_f32 v0, v16, v35, -v0
	v_fma_f32 v3, v18, v39, -v1
	v_fmac_f32_e32 v2, v16, v34
	v_fmac_f32_e32 v6, v18, v38
	v_add_f32_e32 v5, v33, v0
	v_add_f32_e32 v1, v0, v3
	v_sub_f32_e32 v8, v0, v3
	v_add_f32_e32 v4, v2, v6
	v_sub_f32_e32 v7, v2, v6
	v_add_f32_e32 v2, v32, v2
	v_fma_f32 v1, -0.5, v1, v33
	v_add_f32_e32 v3, v5, v3
	v_fma_f32 v0, -0.5, v4, v32
	v_add_f32_e32 v2, v2, v6
	v_fmamk_f32 v5, v7, 0xbf5db3d7, v1
	v_fmac_f32_e32 v1, 0x3f5db3d7, v7
	v_fmamk_f32 v4, v8, 0x3f5db3d7, v0
	v_fmac_f32_e32 v0, 0xbf5db3d7, v8
	v_add_nc_u32_e32 v6, 0x400, v87
	ds_write_b64 v82, v[2:3] offset:720
	ds_write2_b64 v6, v[0:1], v[4:5] offset0:62 offset1:162
.LBB0_9:
	s_or_b32 exec_lo, exec_lo, s0
	s_waitcnt lgkmcnt(0)
	s_barrier
	buffer_gl0_inv
	ds_read2_b64 v[0:3], v82 offset1:30
	ds_read2_b64 v[4:7], v82 offset0:60 offset1:90
	ds_read2_b64 v[8:11], v82 offset0:120 offset1:150
	;; [unrolled: 1-line block ×3, first 2 shown]
	v_mad_u64_u32 v[18:19], null, s8, v81, 0
	v_mad_u64_u32 v[16:17], null, s10, v52, 0
	s_mov_b32 s0, 0xb4e81b4f
	s_mov_b32 s1, 0x3f6b4e81
	v_add_nc_u32_e32 v32, 0x400, v82
	s_mul_i32 s3, s9, 0xf0
	s_mul_hi_u32 s6, s8, 0xf0
	s_mul_i32 s2, s8, 0xf0
	v_mad_u64_u32 v[26:27], null, s11, v52, v[17:18]
	s_add_i32 s6, s6, s3
	s_waitcnt lgkmcnt(2)
	v_mul_f32_e32 v29, v60, v6
	v_mul_f32_e32 v20, v66, v1
	;; [unrolled: 1-line block ×5, first 2 shown]
	v_mov_b32_e32 v17, v26
	v_fmac_f32_e32 v20, v65, v0
	v_fma_f32 v21, v65, v1, -v21
	v_fmac_f32_e32 v22, v67, v2
	v_mov_b32_e32 v0, v19
	v_fma_f32 v3, v67, v3, -v23
	v_cvt_f64_f32_e32 v[1:2], v20
	v_cvt_f64_f32_e32 v[20:21], v21
	;; [unrolled: 1-line block ×3, first 2 shown]
	s_waitcnt lgkmcnt(1)
	v_mul_f32_e32 v33, v58, v9
	v_cvt_f64_f32_e32 v[24:25], v3
	v_mul_f32_e32 v3, v54, v4
	v_fmac_f32_e32 v33, v57, v8
	v_fma_f32 v26, v53, v5, -v3
	v_mad_u64_u32 v[27:28], null, s9, v81, v[0:1]
	v_mul_f32_e32 v0, v54, v5
	v_mul_f32_e32 v28, v60, v7
	v_fma_f32 v7, v59, v7, -v29
	v_fmac_f32_e32 v0, v53, v4
	v_lshlrev_b64 v[3:4], 3, v[16:17]
	v_mov_b32_e32 v19, v27
	v_fmac_f32_e32 v28, v59, v6
	v_cvt_f64_f32_e32 v[16:17], v0
	v_mul_f64 v[0:1], v[1:2], s[0:1]
	v_lshlrev_b64 v[5:6], 3, v[18:19]
	v_add_co_u32 v2, vcc_lo, s4, v3
	v_mul_f64 v[18:19], v[20:21], s[0:1]
	v_mul_f64 v[20:21], v[22:23], s[0:1]
	;; [unrolled: 1-line block ×3, first 2 shown]
	v_cvt_f64_f32_e32 v[24:25], v26
	v_cvt_f64_f32_e32 v[26:27], v28
	;; [unrolled: 1-line block ×3, first 2 shown]
	v_add_co_ci_u32_e32 v3, vcc_lo, s5, v4, vcc_lo
	v_add_co_u32 v4, vcc_lo, v2, v5
	v_mul_f32_e32 v2, v58, v8
	v_add_co_ci_u32_e32 v5, vcc_lo, v3, v6, vcc_lo
	v_add_co_u32 v6, vcc_lo, v4, s2
	v_fma_f32 v34, v57, v9, -v2
	v_add_co_ci_u32_e32 v7, vcc_lo, s6, v5, vcc_lo
	v_cvt_f32_f64_e32 v30, v[0:1]
	ds_read2_b64 v[0:3], v32 offset0:112 offset1:142
	s_waitcnt lgkmcnt(1)
	v_mul_f32_e32 v32, v64, v13
	v_mul_f64 v[16:17], v[16:17], s[0:1]
	v_cvt_f32_f64_e32 v31, v[18:19]
	v_cvt_f32_f64_e32 v18, v[20:21]
	;; [unrolled: 1-line block ×3, first 2 shown]
	v_mul_f64 v[20:21], v[24:25], s[0:1]
	v_mul_f64 v[8:9], v[26:27], s[0:1]
	v_cvt_f64_f32_e32 v[26:27], v34
	v_mul_f32_e32 v34, v56, v15
	v_mul_f64 v[22:23], v[28:29], s[0:1]
	v_mul_f32_e32 v28, v62, v11
	v_mul_f32_e32 v29, v62, v10
	v_cvt_f64_f32_e32 v[24:25], v33
	v_mul_f32_e32 v33, v64, v12
	v_fmac_f32_e32 v34, v55, v14
	v_mul_f32_e32 v14, v56, v14
	v_fmac_f32_e32 v28, v61, v10
	v_fma_f32 v29, v61, v11, -v29
	v_fmac_f32_e32 v32, v63, v12
	s_waitcnt lgkmcnt(0)
	v_mul_f32_e32 v36, v70, v1
	v_mul_f32_e32 v37, v70, v0
	;; [unrolled: 1-line block ×4, first 2 shown]
	v_fma_f32 v33, v63, v13, -v33
	v_fma_f32 v14, v55, v15, -v14
	v_fmac_f32_e32 v36, v69, v0
	v_fma_f32 v15, v69, v1, -v37
	v_cvt_f64_f32_e32 v[10:11], v28
	v_cvt_f64_f32_e32 v[12:13], v29
	v_fmac_f32_e32 v38, v71, v2
	v_fma_f32 v39, v71, v3, -v39
	v_cvt_f64_f32_e32 v[28:29], v32
	v_cvt_f64_f32_e32 v[32:33], v33
	;; [unrolled: 1-line block ×8, first 2 shown]
	global_store_dwordx2 v[4:5], v[30:31], off
	global_store_dwordx2 v[6:7], v[18:19], off
	v_cvt_f32_f64_e32 v4, v[16:17]
	v_mul_f64 v[16:17], v[24:25], s[0:1]
	v_mul_f64 v[18:19], v[26:27], s[0:1]
	v_cvt_f32_f64_e32 v5, v[20:21]
	v_cvt_f32_f64_e32 v8, v[8:9]
	;; [unrolled: 1-line block ×3, first 2 shown]
	v_add_co_u32 v6, vcc_lo, v6, s2
	v_add_co_ci_u32_e32 v7, vcc_lo, s6, v7, vcc_lo
	v_mul_f64 v[10:11], v[10:11], s[0:1]
	v_mul_f64 v[12:13], v[12:13], s[0:1]
	v_add_co_u32 v30, vcc_lo, v6, s2
	v_mul_f64 v[20:21], v[28:29], s[0:1]
	v_mul_f64 v[22:23], v[32:33], s[0:1]
	;; [unrolled: 1-line block ×8, first 2 shown]
	v_add_co_ci_u32_e32 v31, vcc_lo, s6, v7, vcc_lo
	v_cvt_f32_f64_e32 v16, v[16:17]
	v_cvt_f32_f64_e32 v17, v[18:19]
	v_add_co_u32 v18, vcc_lo, v30, s2
	v_add_co_ci_u32_e32 v19, vcc_lo, s6, v31, vcc_lo
	global_store_dwordx2 v[6:7], v[4:5], off
	global_store_dwordx2 v[30:31], v[8:9], off
	v_cvt_f32_f64_e32 v10, v[10:11]
	v_cvt_f32_f64_e32 v11, v[12:13]
	v_add_co_u32 v12, vcc_lo, v18, s2
	v_add_co_ci_u32_e32 v13, vcc_lo, s6, v19, vcc_lo
	v_cvt_f32_f64_e32 v20, v[20:21]
	v_cvt_f32_f64_e32 v21, v[22:23]
	;; [unrolled: 1-line block ×8, first 2 shown]
	v_add_co_u32 v14, vcc_lo, v12, s2
	v_add_co_ci_u32_e32 v15, vcc_lo, s6, v13, vcc_lo
	global_store_dwordx2 v[18:19], v[16:17], off
	v_add_co_u32 v4, vcc_lo, v14, s2
	v_add_co_ci_u32_e32 v5, vcc_lo, s6, v15, vcc_lo
	v_add_co_u32 v6, vcc_lo, v4, s2
	v_add_co_ci_u32_e32 v7, vcc_lo, s6, v5, vcc_lo
	;; [unrolled: 2-line block ×3, first 2 shown]
	global_store_dwordx2 v[12:13], v[10:11], off
	global_store_dwordx2 v[14:15], v[20:21], off
	;; [unrolled: 1-line block ×5, first 2 shown]
.LBB0_10:
	s_endpgm
	.section	.rodata,"a",@progbits
	.p2align	6, 0x0
	.amdhsa_kernel bluestein_single_back_len300_dim1_sp_op_CI_CI
		.amdhsa_group_segment_fixed_size 4800
		.amdhsa_private_segment_fixed_size 0
		.amdhsa_kernarg_size 104
		.amdhsa_user_sgpr_count 6
		.amdhsa_user_sgpr_private_segment_buffer 1
		.amdhsa_user_sgpr_dispatch_ptr 0
		.amdhsa_user_sgpr_queue_ptr 0
		.amdhsa_user_sgpr_kernarg_segment_ptr 1
		.amdhsa_user_sgpr_dispatch_id 0
		.amdhsa_user_sgpr_flat_scratch_init 0
		.amdhsa_user_sgpr_private_segment_size 0
		.amdhsa_wavefront_size32 1
		.amdhsa_uses_dynamic_stack 0
		.amdhsa_system_sgpr_private_segment_wavefront_offset 0
		.amdhsa_system_sgpr_workgroup_id_x 1
		.amdhsa_system_sgpr_workgroup_id_y 0
		.amdhsa_system_sgpr_workgroup_id_z 0
		.amdhsa_system_sgpr_workgroup_info 0
		.amdhsa_system_vgpr_workitem_id 0
		.amdhsa_next_free_vgpr 117
		.amdhsa_next_free_sgpr 20
		.amdhsa_reserve_vcc 1
		.amdhsa_reserve_flat_scratch 0
		.amdhsa_float_round_mode_32 0
		.amdhsa_float_round_mode_16_64 0
		.amdhsa_float_denorm_mode_32 3
		.amdhsa_float_denorm_mode_16_64 3
		.amdhsa_dx10_clamp 1
		.amdhsa_ieee_mode 1
		.amdhsa_fp16_overflow 0
		.amdhsa_workgroup_processor_mode 1
		.amdhsa_memory_ordered 1
		.amdhsa_forward_progress 0
		.amdhsa_shared_vgpr_count 0
		.amdhsa_exception_fp_ieee_invalid_op 0
		.amdhsa_exception_fp_denorm_src 0
		.amdhsa_exception_fp_ieee_div_zero 0
		.amdhsa_exception_fp_ieee_overflow 0
		.amdhsa_exception_fp_ieee_underflow 0
		.amdhsa_exception_fp_ieee_inexact 0
		.amdhsa_exception_int_div_zero 0
	.end_amdhsa_kernel
	.text
.Lfunc_end0:
	.size	bluestein_single_back_len300_dim1_sp_op_CI_CI, .Lfunc_end0-bluestein_single_back_len300_dim1_sp_op_CI_CI
                                        ; -- End function
	.section	.AMDGPU.csdata,"",@progbits
; Kernel info:
; codeLenInByte = 8244
; NumSgprs: 22
; NumVgprs: 117
; ScratchSize: 0
; MemoryBound: 0
; FloatMode: 240
; IeeeMode: 1
; LDSByteSize: 4800 bytes/workgroup (compile time only)
; SGPRBlocks: 2
; VGPRBlocks: 14
; NumSGPRsForWavesPerEU: 22
; NumVGPRsForWavesPerEU: 117
; Occupancy: 8
; WaveLimiterHint : 1
; COMPUTE_PGM_RSRC2:SCRATCH_EN: 0
; COMPUTE_PGM_RSRC2:USER_SGPR: 6
; COMPUTE_PGM_RSRC2:TRAP_HANDLER: 0
; COMPUTE_PGM_RSRC2:TGID_X_EN: 1
; COMPUTE_PGM_RSRC2:TGID_Y_EN: 0
; COMPUTE_PGM_RSRC2:TGID_Z_EN: 0
; COMPUTE_PGM_RSRC2:TIDIG_COMP_CNT: 0
	.text
	.p2alignl 6, 3214868480
	.fill 48, 4, 3214868480
	.type	__hip_cuid_61b7d8966e5e7bd8,@object ; @__hip_cuid_61b7d8966e5e7bd8
	.section	.bss,"aw",@nobits
	.globl	__hip_cuid_61b7d8966e5e7bd8
__hip_cuid_61b7d8966e5e7bd8:
	.byte	0                               ; 0x0
	.size	__hip_cuid_61b7d8966e5e7bd8, 1

	.ident	"AMD clang version 19.0.0git (https://github.com/RadeonOpenCompute/llvm-project roc-6.4.0 25133 c7fe45cf4b819c5991fe208aaa96edf142730f1d)"
	.section	".note.GNU-stack","",@progbits
	.addrsig
	.addrsig_sym __hip_cuid_61b7d8966e5e7bd8
	.amdgpu_metadata
---
amdhsa.kernels:
  - .args:
      - .actual_access:  read_only
        .address_space:  global
        .offset:         0
        .size:           8
        .value_kind:     global_buffer
      - .actual_access:  read_only
        .address_space:  global
        .offset:         8
        .size:           8
        .value_kind:     global_buffer
      - .actual_access:  read_only
        .address_space:  global
        .offset:         16
        .size:           8
        .value_kind:     global_buffer
      - .actual_access:  read_only
        .address_space:  global
        .offset:         24
        .size:           8
        .value_kind:     global_buffer
      - .actual_access:  read_only
        .address_space:  global
        .offset:         32
        .size:           8
        .value_kind:     global_buffer
      - .offset:         40
        .size:           8
        .value_kind:     by_value
      - .address_space:  global
        .offset:         48
        .size:           8
        .value_kind:     global_buffer
      - .address_space:  global
        .offset:         56
        .size:           8
        .value_kind:     global_buffer
      - .address_space:  global
        .offset:         64
        .size:           8
        .value_kind:     global_buffer
      - .address_space:  global
        .offset:         72
        .size:           8
        .value_kind:     global_buffer
      - .offset:         80
        .size:           4
        .value_kind:     by_value
      - .address_space:  global
        .offset:         88
        .size:           8
        .value_kind:     global_buffer
      - .address_space:  global
        .offset:         96
        .size:           8
        .value_kind:     global_buffer
    .group_segment_fixed_size: 4800
    .kernarg_segment_align: 8
    .kernarg_segment_size: 104
    .language:       OpenCL C
    .language_version:
      - 2
      - 0
    .max_flat_workgroup_size: 60
    .name:           bluestein_single_back_len300_dim1_sp_op_CI_CI
    .private_segment_fixed_size: 0
    .sgpr_count:     22
    .sgpr_spill_count: 0
    .symbol:         bluestein_single_back_len300_dim1_sp_op_CI_CI.kd
    .uniform_work_group_size: 1
    .uses_dynamic_stack: false
    .vgpr_count:     117
    .vgpr_spill_count: 0
    .wavefront_size: 32
    .workgroup_processor_mode: 1
amdhsa.target:   amdgcn-amd-amdhsa--gfx1030
amdhsa.version:
  - 1
  - 2
...

	.end_amdgpu_metadata
